;; amdgpu-corpus repo=ROCm/rocFFT kind=compiled arch=gfx950 opt=O3
	.text
	.amdgcn_target "amdgcn-amd-amdhsa--gfx950"
	.amdhsa_code_object_version 6
	.protected	bluestein_single_fwd_len588_dim1_sp_op_CI_CI ; -- Begin function bluestein_single_fwd_len588_dim1_sp_op_CI_CI
	.globl	bluestein_single_fwd_len588_dim1_sp_op_CI_CI
	.p2align	8
	.type	bluestein_single_fwd_len588_dim1_sp_op_CI_CI,@function
bluestein_single_fwd_len588_dim1_sp_op_CI_CI: ; @bluestein_single_fwd_len588_dim1_sp_op_CI_CI
; %bb.0:
	s_load_dwordx4 s[16:19], s[0:1], 0x28
	v_mul_u32_u24_e32 v1, 0x30d, v0
	v_lshrrev_b32_e32 v2, 16, v1
	v_mad_u64_u32 v[52:53], s[2:3], s2, 3, v[2:3]
	v_mov_b32_e32 v53, 0
	s_waitcnt lgkmcnt(0)
	v_cmp_gt_u64_e32 vcc, s[16:17], v[52:53]
	s_and_saveexec_b64 s[2:3], vcc
	s_cbranch_execz .LBB0_20
; %bb.1:
	s_load_dwordx4 s[4:7], s[0:1], 0x18
	s_load_dwordx4 s[12:15], s[0:1], 0x0
	v_mul_lo_u16_e32 v1, 0x54, v2
	v_sub_u16_e32 v53, v0, v1
	v_mov_b32_e32 v4, s18
	s_waitcnt lgkmcnt(0)
	s_load_dwordx4 s[8:11], s[4:5], 0x0
	v_mov_b32_e32 v5, s19
	v_mov_b32_e32 v14, 0x2a0
	v_lshlrev_b32_e32 v32, 3, v53
	s_load_dwordx2 s[16:17], s[0:1], 0x38
	s_waitcnt lgkmcnt(0)
	v_mad_u64_u32 v[0:1], s[2:3], s10, v52, 0
	v_mov_b32_e32 v2, v1
	v_mad_u64_u32 v[2:3], s[2:3], s11, v52, v[2:3]
	v_mov_b32_e32 v1, v2
	v_mad_u64_u32 v[2:3], s[2:3], s8, v53, 0
	v_mov_b32_e32 v6, v3
	v_mad_u64_u32 v[6:7], s[2:3], s9, v53, v[6:7]
	v_mov_b32_e32 v3, v6
	v_lshl_add_u64 v[0:1], v[0:1], 3, v[4:5]
	v_lshl_add_u64 v[0:1], v[2:3], 3, v[0:1]
	global_load_dwordx2 v[2:3], v[0:1], off
	v_mad_u64_u32 v[0:1], s[2:3], s8, v14, v[0:1]
	s_mul_i32 s4, s9, 0x2a0
	v_add_u32_e32 v1, s4, v1
	v_mad_u64_u32 v[4:5], s[2:3], s8, v14, v[0:1]
	v_add_u32_e32 v5, s4, v5
	global_load_dwordx2 v[62:63], v32, s[12:13]
	global_load_dwordx2 v[60:61], v32, s[12:13] offset:672
	global_load_dwordx2 v[6:7], v[4:5], off
	v_mad_u64_u32 v[4:5], s[2:3], s8, v14, v[4:5]
	global_load_dwordx2 v[0:1], v[0:1], off
	v_add_u32_e32 v5, s4, v5
	global_load_dwordx2 v[58:59], v32, s[12:13] offset:1344
	global_load_dwordx2 v[56:57], v32, s[12:13] offset:2016
	global_load_dwordx2 v[8:9], v[4:5], off
	v_mad_u64_u32 v[4:5], s[2:3], s8, v14, v[4:5]
	v_add_u32_e32 v5, s4, v5
	global_load_dwordx2 v[10:11], v[4:5], off
	global_load_dwordx2 v[54:55], v32, s[12:13] offset:2688
	v_mad_u64_u32 v[4:5], s[2:3], s8, v14, v[4:5]
	v_add_u32_e32 v5, s4, v5
	global_load_dwordx2 v[12:13], v[4:5], off
	global_load_dwordx2 v[50:51], v32, s[12:13] offset:3360
	v_mad_u64_u32 v[4:5], s[2:3], s8, v14, v[4:5]
	v_add_u32_e32 v5, s4, v5
	global_load_dwordx2 v[48:49], v32, s[12:13] offset:4032
	global_load_dwordx2 v[14:15], v[4:5], off
	s_mov_b32 s2, 0xaaaaaaab
	v_mul_hi_u32 v4, v52, s2
	v_lshrrev_b32_e32 v4, 1, v4
	v_lshl_add_u32 v4, v4, 1, v4
	v_sub_u32_e32 v4, v52, v4
	v_mul_u32_u24_e32 v4, 0x24c, v4
	v_lshlrev_b32_e32 v82, 3, v4
	v_add_u32_e32 v71, v32, v82
	v_add_u32_e32 v30, 0x800, v71
	s_load_dwordx4 s[8:11], s[6:7], 0x0
	s_mov_b32 s2, 0x3d64c772
	s_mov_b32 s3, 0x3f4a47b2
	;; [unrolled: 1-line block ×9, first 2 shown]
	v_cmp_lt_u16_e32 vcc, 27, v53
                                        ; implicit-def: $vgpr34
	s_waitcnt vmcnt(12)
	v_mul_f32_e32 v4, v3, v63
	v_mul_f32_e32 v5, v2, v63
	v_fmac_f32_e32 v4, v2, v62
	v_fma_f32 v5, v3, v62, -v5
	s_waitcnt vmcnt(9)
	v_mul_f32_e32 v2, v1, v61
	v_mul_f32_e32 v3, v0, v61
	v_fmac_f32_e32 v2, v0, v60
	v_fma_f32 v3, v1, v60, -v3
	ds_write2_b64 v71, v[4:5], v[2:3] offset1:84
	s_waitcnt vmcnt(8)
	v_mul_f32_e32 v0, v7, v59
	v_mul_f32_e32 v1, v6, v59
	s_waitcnt vmcnt(6)
	v_mul_f32_e32 v2, v9, v57
	v_mul_f32_e32 v3, v8, v57
	v_fmac_f32_e32 v0, v6, v58
	v_fma_f32 v1, v7, v58, -v1
	v_fmac_f32_e32 v2, v8, v56
	v_fma_f32 v3, v9, v56, -v3
	ds_write2_b64 v71, v[0:1], v[2:3] offset0:168 offset1:252
	s_waitcnt vmcnt(4)
	v_mul_f32_e32 v0, v11, v55
	v_mul_f32_e32 v1, v10, v55
	s_waitcnt vmcnt(2)
	v_mul_f32_e32 v2, v13, v51
	v_mul_f32_e32 v3, v12, v51
	v_fmac_f32_e32 v0, v10, v54
	v_fma_f32 v1, v11, v54, -v1
	v_fmac_f32_e32 v2, v12, v50
	v_fma_f32 v3, v13, v50, -v3
	ds_write2_b64 v30, v[0:1], v[2:3] offset0:80 offset1:164
	s_waitcnt vmcnt(0)
	v_mul_f32_e32 v0, v15, v49
	v_mul_f32_e32 v1, v14, v49
	v_fmac_f32_e32 v0, v14, v48
	v_fma_f32 v1, v15, v48, -v1
	ds_write_b64 v71, v[0:1] offset:4032
	s_waitcnt lgkmcnt(0)
	s_barrier
	ds_read2_b64 v[0:3], v71 offset1:84
	ds_read_b64 v[12:13], v71 offset:4032
	ds_read2_b64 v[4:7], v71 offset0:168 offset1:252
	ds_read2_b64 v[8:11], v30 offset0:80 offset1:164
	s_waitcnt lgkmcnt(0)
	s_barrier
	v_pk_add_f32 v[14:15], v[2:3], v[12:13]
	v_pk_add_f32 v[16:17], v[2:3], v[12:13] neg_lo:[0,1] neg_hi:[0,1]
	v_pk_add_f32 v[18:19], v[4:5], v[10:11]
	v_pk_add_f32 v[20:21], v[4:5], v[10:11] neg_lo:[0,1] neg_hi:[0,1]
	v_mov_b32_e32 v2, v6
	v_mov_b32_e32 v12, v8
	;; [unrolled: 1-line block ×4, first 2 shown]
	v_pk_add_f32 v[6:7], v[8:9], v[6:7] neg_lo:[0,1] neg_hi:[0,1]
	v_pk_add_f32 v[2:3], v[2:3], v[12:13]
	v_pk_add_f32 v[4:5], v[4:5], v[10:11]
	v_mov_b32_e32 v15, v3
	v_mov_b32_e32 v18, v4
	v_pk_add_f32 v[10:11], v[2:3], v[4:5] neg_lo:[0,1] neg_hi:[0,1]
	v_mov_b32_e32 v4, v14
	v_mov_b32_e32 v3, v19
	;; [unrolled: 1-line block ×6, first 2 shown]
	v_pk_add_f32 v[8:9], v[18:19], v[14:15]
	v_pk_add_f32 v[12:13], v[4:5], v[2:3] neg_lo:[0,1] neg_hi:[0,1]
	v_pk_add_f32 v[22:23], v[6:7], v[20:21]
	v_pk_add_f32 v[24:25], v[24:25], v[26:27] neg_lo:[0,1] neg_hi:[0,1]
	v_mov_b32_e32 v26, v17
	v_mov_b32_e32 v6, v7
	;; [unrolled: 1-line block ×4, first 2 shown]
	v_pk_add_f32 v[6:7], v[26:27], v[6:7] neg_lo:[0,1] neg_hi:[0,1]
	v_pk_add_f32 v[2:3], v[2:3], v[8:9]
	v_pk_add_f32 v[4:5], v[22:23], v[16:17]
	v_pk_add_f32 v[0:1], v[0:1], v[2:3]
	v_pk_mul_f32 v[22:23], v[12:13], s[4:5]
	s_mov_b32 s4, 0x3ee1c552
	v_pk_mul_f32 v[6:7], v[6:7], s[6:7]
	v_pk_mul_f32 v[8:9], v[10:11], s[2:3]
	v_pk_mul_f32 v[12:13], v[4:5], s[4:5] op_sel_hi:[1,0]
	v_pk_mul_f32 v[26:27], v[24:25], s[18:19]
	v_pk_fma_f32 v[2:3], v[2:3], s[0:1], v[0:1] op_sel_hi:[1,0,1]
	v_pk_fma_f32 v[10:11], v[10:11], s[2:3], v[22:23]
	v_pk_fma_f32 v[24:25], v[24:25], s[18:19], v[6:7]
	v_pk_add_f32 v[10:11], v[10:11], v[2:3]
	v_pk_add_f32 v[12:13], v[12:13], v[24:25] op_sel:[1,0] op_sel_hi:[0,1]
	v_pk_add_f32 v[28:29], v[10:11], v[12:13]
	v_pk_add_f32 v[12:13], v[10:11], v[12:13] neg_lo:[0,1] neg_hi:[0,1]
	v_mul_lo_u16_e32 v10, 7, v53
	v_lshl_add_u32 v40, v10, 3, v82
	v_mov_b32_e32 v10, v28
	v_mov_b32_e32 v11, v13
	ds_write2_b64 v40, v[0:1], v[10:11] offset1:1
	v_pk_add_f32 v[0:1], v[18:19], v[14:15] neg_lo:[0,1] neg_hi:[0,1]
	v_pk_add_f32 v[10:11], v[20:21], v[16:17] neg_lo:[0,1] neg_hi:[0,1]
	s_mov_b32 s0, 0x3f3bfb3b
	s_mov_b32 s2, 0x3f5ff5aa
	v_mov_b32_e32 v14, v22
	v_mov_b32_e32 v15, v9
	;; [unrolled: 1-line block ×7, first 2 shown]
	v_pk_fma_f32 v[14:15], v[0:1], s[0:1], v[14:15] op_sel_hi:[1,0,1] neg_lo:[1,0,1] neg_hi:[1,0,1]
	v_pk_fma_f32 v[16:17], v[10:11], s[2:3], v[16:17] op_sel_hi:[1,0,1] neg_lo:[1,0,1] neg_hi:[1,0,1]
	;; [unrolled: 1-line block ×4, first 2 shown]
	v_pk_add_f32 v[14:15], v[14:15], v[2:3]
	v_pk_fma_f32 v[16:17], v[4:5], s[4:5], v[16:17] op_sel_hi:[1,0,1]
	v_pk_add_f32 v[0:1], v[0:1], v[2:3]
	v_pk_fma_f32 v[2:3], v[4:5], s[4:5], v[6:7] op_sel_hi:[1,0,1]
	v_pk_add_f32 v[18:19], v[14:15], v[16:17] op_sel:[0,1] op_sel_hi:[1,0]
	v_pk_add_f32 v[14:15], v[14:15], v[16:17] op_sel:[0,1] op_sel_hi:[1,0] neg_lo:[0,1] neg_hi:[0,1]
	v_pk_add_f32 v[4:5], v[0:1], v[2:3] op_sel:[0,1] op_sel_hi:[1,0] neg_lo:[0,1] neg_hi:[0,1]
	v_pk_add_f32 v[0:1], v[0:1], v[2:3] op_sel:[0,1] op_sel_hi:[1,0]
	v_mov_b32_e32 v3, v15
	v_mov_b32_e32 v7, v1
	;; [unrolled: 1-line block ×6, first 2 shown]
	ds_write2_b64 v40, v[0:1], v[14:15] offset0:4 offset1:5
	v_mov_b32_e32 v13, v29
	v_add_u32_e32 v0, 0x400, v71
	ds_write2_b64 v40, v[2:3], v[6:7] offset0:2 offset1:3
	ds_write_b64 v40, v[12:13] offset:48
	s_waitcnt lgkmcnt(0)
	s_barrier
	ds_read2_b64 v[16:19], v71 offset1:84
	ds_read2_b64 v[24:27], v0 offset0:68 offset1:152
	ds_read2_b64 v[20:23], v30 offset0:136 offset1:220
	v_cmp_gt_u16_e64 s[2:3], 28, v53
                                        ; implicit-def: $vgpr30
                                        ; implicit-def: $vgpr28
	s_and_saveexec_b64 s[0:1], s[2:3]
	s_cbranch_execz .LBB0_3
; %bb.2:
	ds_read2_b64 v[12:15], v0 offset0:40 offset1:236
	ds_read_b64 v[28:29], v71 offset:4480
	s_waitcnt lgkmcnt(1)
	v_mov_b32_e32 v30, v15
	s_waitcnt lgkmcnt(0)
	v_mov_b32_e32 v34, v29
.LBB0_3:
	s_or_b64 exec, exec, s[0:1]
	v_mov_b32_e32 v0, 37
	v_mul_lo_u16_sdwa v1, v53, v0 dst_sel:DWORD dst_unused:UNUSED_PAD src0_sel:BYTE_0 src1_sel:DWORD
	v_sub_u16_sdwa v2, v53, v1 dst_sel:DWORD dst_unused:UNUSED_PAD src0_sel:DWORD src1_sel:BYTE_1
	v_lshrrev_b16_e32 v2, 1, v2
	v_and_b32_e32 v2, 0x7f, v2
	v_add_u16_sdwa v1, v2, v1 dst_sel:DWORD dst_unused:UNUSED_PAD src0_sel:DWORD src1_sel:BYTE_1
	v_lshrrev_b16_e32 v29, 2, v1
	v_mul_lo_u16_e32 v1, 7, v29
	v_add_u16_e32 v15, 0x54, v53
	v_sub_u16_e32 v31, v53, v1
	v_mul_lo_u16_sdwa v1, v15, v0 dst_sel:DWORD dst_unused:UNUSED_PAD src0_sel:BYTE_0 src1_sel:DWORD
	v_sub_u16_sdwa v2, v15, v1 dst_sel:DWORD dst_unused:UNUSED_PAD src0_sel:DWORD src1_sel:BYTE_1
	v_lshrrev_b16_e32 v2, 1, v2
	v_and_b32_e32 v2, 0x7f, v2
	v_add_u16_sdwa v1, v2, v1 dst_sel:DWORD dst_unused:UNUSED_PAD src0_sel:DWORD src1_sel:BYTE_1
	v_add_u16_e32 v2, 0xa8, v53
	v_mul_lo_u16_sdwa v0, v2, v0 dst_sel:DWORD dst_unused:UNUSED_PAD src0_sel:BYTE_0 src1_sel:DWORD
	v_sub_u16_sdwa v3, v2, v0 dst_sel:DWORD dst_unused:UNUSED_PAD src0_sel:DWORD src1_sel:BYTE_1
	v_lshrrev_b16_e32 v3, 1, v3
	v_and_b32_e32 v3, 0x7f, v3
	v_lshrrev_b16_e32 v33, 2, v1
	v_add_u16_sdwa v0, v3, v0 dst_sel:DWORD dst_unused:UNUSED_PAD src0_sel:DWORD src1_sel:BYTE_1
	v_mul_lo_u16_e32 v1, 7, v33
	v_lshrrev_b16_e32 v83, 2, v0
	v_mov_b32_e32 v8, 4
	v_sub_u16_e32 v41, v15, v1
	v_mul_lo_u16_e32 v0, 7, v83
	v_lshlrev_b32_sdwa v1, v8, v41 dst_sel:DWORD dst_unused:UNUSED_PAD src0_sel:DWORD src1_sel:BYTE_0
	v_sub_u16_e32 v84, v2, v0
	global_load_dwordx4 v[4:7], v1, s[14:15]
	v_lshlrev_b32_sdwa v0, v8, v84 dst_sel:DWORD dst_unused:UNUSED_PAD src0_sel:DWORD src1_sel:BYTE_0
	global_load_dwordx4 v[0:3], v0, s[14:15]
	v_lshlrev_b32_sdwa v8, v8, v31 dst_sel:DWORD dst_unused:UNUSED_PAD src0_sel:DWORD src1_sel:BYTE_0
	global_load_dwordx4 v[8:11], v8, s[14:15]
	v_mul_u32_u24_e32 v29, 21, v29
	v_add_u32_sdwa v29, v29, v31 dst_sel:DWORD dst_unused:UNUSED_PAD src0_sel:DWORD src1_sel:BYTE_0
	v_lshl_add_u32 v86, v29, 3, v82
	s_mov_b32 s0, 0x3f5db3d7
	s_waitcnt lgkmcnt(0)
	s_barrier
	s_waitcnt vmcnt(2)
	v_pk_mul_f32 v[36:37], v[26:27], v[4:5] op_sel:[0,1]
	v_mov_b32_e32 v38, v7
	s_waitcnt vmcnt(1)
	v_pk_mul_f32 v[30:31], v[30:31], v[0:1] op_sel_hi:[0,1]
	v_pk_mul_f32 v[34:35], v[34:35], v[2:3] op_sel_hi:[0,1]
	v_pk_fma_f32 v[46:47], v[26:27], v[4:5], v[36:37] op_sel:[0,0,1] op_sel_hi:[1,1,0] neg_lo:[0,0,1] neg_hi:[0,0,1]
	v_pk_fma_f32 v[26:27], v[26:27], v[4:5], v[36:37] op_sel:[0,0,1] op_sel_hi:[1,0,0]
	v_pk_mul_f32 v[36:37], v[22:23], v[38:39] op_sel_hi:[1,0]
	s_waitcnt vmcnt(0)
	v_pk_mul_f32 v[42:43], v[24:25], v[8:9] op_sel:[0,1]
	v_mov_b32_e32 v44, v11
	v_pk_fma_f32 v[38:39], v[14:15], v[0:1], v[30:31] op_sel:[0,0,1] op_sel_hi:[0,1,0]
	v_pk_fma_f32 v[30:31], v[14:15], v[0:1], v[30:31] op_sel:[0,0,1] op_sel_hi:[0,1,0] neg_lo:[0,0,1] neg_hi:[0,0,1]
	v_pk_fma_f32 v[64:65], v[28:29], v[2:3], v[34:35] op_sel:[0,0,1] op_sel_hi:[0,1,0]
	v_pk_fma_f32 v[28:29], v[28:29], v[2:3], v[34:35] op_sel:[0,0,1] op_sel_hi:[0,1,0] neg_lo:[0,0,1] neg_hi:[0,0,1]
	v_mov_b32_e32 v47, v27
	v_pk_fma_f32 v[26:27], v[22:23], v[6:7], v[36:37] op_sel:[0,0,1] op_sel_hi:[1,1,0] neg_lo:[0,0,1] neg_hi:[0,0,1]
	v_pk_fma_f32 v[22:23], v[22:23], v[6:7], v[36:37] op_sel:[0,0,1] op_sel_hi:[1,0,0]
	v_pk_fma_f32 v[66:67], v[24:25], v[8:9], v[42:43] op_sel:[0,0,1] op_sel_hi:[1,1,0] neg_lo:[0,0,1] neg_hi:[0,0,1]
	v_pk_fma_f32 v[24:25], v[24:25], v[8:9], v[42:43] op_sel:[0,0,1] op_sel_hi:[1,0,0]
	v_pk_mul_f32 v[34:35], v[20:21], v[44:45] op_sel_hi:[1,0]
	v_mov_b32_e32 v31, v39
	v_mov_b32_e32 v29, v65
	;; [unrolled: 1-line block ×5, first 2 shown]
	v_pk_fma_f32 v[24:25], v[20:21], v[10:11], v[34:35] op_sel:[0,0,1] op_sel_hi:[1,1,0] neg_lo:[0,0,1] neg_hi:[0,0,1]
	v_pk_fma_f32 v[20:21], v[20:21], v[10:11], v[34:35] op_sel:[0,0,1] op_sel_hi:[1,0,0]
	v_pk_add_f32 v[34:35], v[12:13], v[30:31]
	v_pk_add_f32 v[38:39], v[30:31], v[28:29]
	v_pk_add_f32 v[28:29], v[30:31], v[28:29] neg_lo:[0,1] neg_hi:[0,1]
	v_pk_add_f32 v[30:31], v[46:47], v[26:27]
	v_pk_add_f32 v[42:43], v[46:47], v[26:27] neg_lo:[0,1] neg_hi:[0,1]
	v_mov_b32_e32 v25, v21
	v_pk_add_f32 v[20:21], v[16:17], v[66:67]
	v_pk_fma_f32 v[12:13], v[38:39], 0.5, v[12:13] op_sel_hi:[1,0,1] neg_lo:[1,0,0] neg_hi:[1,0,0]
	v_pk_mul_f32 v[28:29], v[28:29], s[0:1] op_sel_hi:[1,0]
	v_pk_fma_f32 v[30:31], v[30:31], 0.5, v[18:19] op_sel_hi:[1,0,1] neg_lo:[1,0,0] neg_hi:[1,0,0]
	v_pk_mul_f32 v[42:43], v[42:43], s[0:1] op_sel_hi:[1,0]
	v_mov_b32_e32 v22, v65
	v_pk_add_f32 v[64:65], v[20:21], v[24:25]
	v_mov_b32_e32 v36, v12
	v_mov_b32_e32 v72, v13
	v_pk_add_f32 v[74:75], v[12:13], v[28:29] op_sel:[0,1] op_sel_hi:[1,0]
	v_pk_add_f32 v[68:69], v[12:13], v[28:29] op_sel:[0,1] op_sel_hi:[1,0] neg_lo:[0,1] neg_hi:[0,1]
	v_pk_add_f32 v[20:21], v[30:31], v[42:43] op_sel:[0,1] op_sel_hi:[1,0]
	v_pk_add_f32 v[12:13], v[30:31], v[42:43] op_sel:[0,1] op_sel_hi:[1,0] neg_lo:[0,1] neg_hi:[0,1]
	v_mov_b32_e32 v39, v34
	v_mov_b32_e32 v21, v13
	v_pk_add_f32 v[12:13], v[66:67], v[24:25]
	v_mov_b32_e32 v44, v35
	v_pk_fma_f32 v[12:13], v[12:13], 0.5, v[16:17] op_sel_hi:[1,0,1] neg_lo:[1,0,0] neg_hi:[1,0,0]
	v_pk_add_f32 v[16:17], v[66:67], v[24:25] neg_lo:[0,1] neg_hi:[0,1]
	v_mov_b32_e32 v38, v29
	v_mov_b32_e32 v45, v42
	;; [unrolled: 1-line block ×3, first 2 shown]
	v_pk_mul_f32 v[16:17], v[16:17], s[0:1] op_sel_hi:[1,0]
	v_pk_add_f32 v[34:35], v[38:39], v[36:37]
	v_pk_add_f32 v[38:39], v[44:45], v[22:23]
	v_pk_add_f32 v[22:23], v[12:13], v[16:17] op_sel:[0,1] op_sel_hi:[1,0]
	v_pk_add_f32 v[12:13], v[12:13], v[16:17] op_sel:[0,1] op_sel_hi:[1,0] neg_lo:[0,1] neg_hi:[0,1]
	v_mov_b32_e32 v73, v30
	v_mov_b32_e32 v17, v13
	;; [unrolled: 1-line block ×3, first 2 shown]
	ds_write_b64 v86, v[12:13] offset:112
	v_mul_u32_u24_e32 v12, 21, v33
	v_add_u32_sdwa v12, v12, v41 dst_sel:DWORD dst_unused:UNUSED_PAD src0_sel:DWORD src1_sel:BYTE_0
	v_mov_b32_e32 v42, v28
	v_lshl_add_u32 v89, v12, 3, v82
	v_pk_add_f32 v[12:13], v[18:19], v[46:47]
	v_pk_add_f32 v[36:37], v[72:73], v[42:43] neg_lo:[0,1] neg_hi:[0,1]
	v_mov_b32_e32 v16, v22
	v_pk_add_f32 v[12:13], v[12:13], v[26:27]
	v_mov_b32_e32 v69, v75
	ds_write2_b64 v86, v[64:65], v[16:17] offset1:7
	ds_write2_b64 v89, v[12:13], v[20:21] offset1:7
	v_mov_b32_e32 v12, v37
	v_mov_b32_e32 v13, v39
	ds_write_b64 v89, v[12:13] offset:112
	s_and_saveexec_b64 s[0:1], s[2:3]
	s_cbranch_execz .LBB0_5
; %bb.4:
	v_mul_u32_u24_e32 v12, 21, v83
	v_add_u32_sdwa v12, v12, v84 dst_sel:DWORD dst_unused:UNUSED_PAD src0_sel:DWORD src1_sel:BYTE_0
	v_lshl_add_u32 v14, v12, 3, v82
	v_mov_b32_e32 v12, v35
	v_mov_b32_e32 v13, v38
	v_mov_b32_e32 v16, v34
	v_mov_b32_e32 v17, v36
	ds_write2_b64 v14, v[12:13], v[16:17] offset1:7
	ds_write_b64 v14, v[68:69] offset:112
.LBB0_5:
	s_or_b64 exec, exec, s[0:1]
	v_add_u32_e32 v12, 0x800, v71
	s_waitcnt lgkmcnt(0)
	s_barrier
	ds_read2_b64 v[24:27], v71 offset1:147
	ds_read2_b64 v[28:31], v12 offset0:38 offset1:185
	v_cmp_gt_u16_e64 s[0:1], 63, v53
	v_cmp_lt_u16_e64 s[4:5], 62, v53
	s_and_saveexec_b64 s[6:7], s[4:5]
	s_xor_b64 s[6:7], exec, s[6:7]
	s_andn2_saveexec_b64 s[6:7], s[6:7]
	s_cbranch_execz .LBB0_7
; %bb.6:
	v_add_u32_e32 v12, 0xa00, v71
	ds_read2_b64 v[20:23], v71 offset0:84 offset1:231
	ds_read2_b64 v[16:19], v12 offset0:58 offset1:205
	s_waitcnt lgkmcnt(1)
	v_mov_b32_e32 v39, v23
	s_waitcnt lgkmcnt(0)
	v_mov_b32_e32 v34, v18
	v_mov_b32_e32 v35, v16
	v_mov_b32_e32 v38, v17
	v_mov_b32_e32 v36, v19
	v_mov_b32_e32 v37, v22
.LBB0_7:
	s_or_b64 exec, exec, s[6:7]
	s_movk_i32 s6, 0x87
	v_mul_lo_u16_sdwa v12, v53, s6 dst_sel:DWORD dst_unused:UNUSED_PAD src0_sel:BYTE_0 src1_sel:DWORD
	v_sub_u16_sdwa v13, v53, v12 dst_sel:DWORD dst_unused:UNUSED_PAD src0_sel:DWORD src1_sel:BYTE_1
	v_lshrrev_b16_e32 v13, 1, v13
	v_and_b32_e32 v13, 0x7f, v13
	v_add_u16_sdwa v12, v13, v12 dst_sel:DWORD dst_unused:UNUSED_PAD src0_sel:DWORD src1_sel:BYTE_1
	v_lshrrev_b16_e32 v12, 4, v12
	v_and_b32_e32 v41, 15, v12
	v_mul_lo_u16_e32 v12, 21, v41
	v_sub_u16_e32 v12, v53, v12
	v_and_b32_e32 v42, 0xff, v12
	v_mul_lo_u16_sdwa v12, v15, s6 dst_sel:DWORD dst_unused:UNUSED_PAD src0_sel:BYTE_0 src1_sel:DWORD
	v_sub_u16_sdwa v13, v15, v12 dst_sel:DWORD dst_unused:UNUSED_PAD src0_sel:DWORD src1_sel:BYTE_1
	v_lshrrev_b16_e32 v13, 1, v13
	v_and_b32_e32 v13, 0x7f, v13
	v_add_u16_sdwa v12, v13, v12 dst_sel:DWORD dst_unused:UNUSED_PAD src0_sel:DWORD src1_sel:BYTE_1
	v_lshrrev_b16_e32 v12, 4, v12
	v_and_b32_e32 v85, 15, v12
	v_mul_lo_u16_e32 v12, 21, v85
	v_sub_u16_e32 v12, v15, v12
	v_and_b32_e32 v87, 0xff, v12
	v_mad_u64_u32 v[16:17], s[6:7], v87, 24, s[14:15]
	global_load_dwordx2 v[64:65], v[16:17], off offset:128
	global_load_dwordx4 v[12:15], v[16:17], off offset:112
	v_mad_u64_u32 v[22:23], s[6:7], v42, 24, s[14:15]
	global_load_dwordx4 v[16:19], v[22:23], off offset:112
	global_load_dwordx2 v[66:67], v[22:23], off offset:128
	s_movk_i32 s18, 0x54
	v_mul_u32_u24_sdwa v22, v41, s18 dst_sel:DWORD dst_unused:UNUSED_PAD src0_sel:WORD_0 src1_sel:DWORD
	v_add_u32_e32 v22, v22, v42
	v_lshl_add_u32 v88, v22, 3, v82
	v_mov_b32_e32 v33, 0
	s_waitcnt lgkmcnt(0)
	s_barrier
	s_waitcnt vmcnt(3)
	v_pk_mul_f32 v[44:45], v[36:37], v[64:65] op_sel_hi:[0,1]
	s_waitcnt vmcnt(2)
	v_pk_mul_f32 v[42:43], v[38:39], v[12:13] op_sel:[1,0]
	v_pk_mul_f32 v[38:39], v[38:39], v[14:15] op_sel_hi:[0,1]
	s_waitcnt vmcnt(1)
	v_pk_mul_f32 v[46:47], v[26:27], v[16:17] op_sel:[0,1]
	v_mov_b32_e32 v70, v19
	s_waitcnt vmcnt(0)
	v_pk_mul_f32 v[72:73], v[30:31], v[66:67] op_sel:[0,1]
	v_pk_fma_f32 v[22:23], v[36:37], v[12:13], v[42:43] op_sel:[1,0,1] op_sel_hi:[1,1,0] neg_lo:[0,0,1] neg_hi:[0,0,1]
	v_pk_fma_f32 v[36:37], v[36:37], v[12:13], v[42:43] op_sel:[1,0,1] op_sel_hi:[1,1,0]
	v_pk_fma_f32 v[42:43], v[34:35], v[14:15], v[38:39] op_sel:[1,0,1] op_sel_hi:[1,1,0] neg_lo:[0,0,1] neg_hi:[0,0,1]
	v_pk_fma_f32 v[38:39], v[34:35], v[14:15], v[38:39] op_sel:[1,0,1] op_sel_hi:[1,1,0]
	;; [unrolled: 2-line block ×4, first 2 shown]
	v_pk_mul_f32 v[46:47], v[28:29], v[70:71] op_sel_hi:[1,0]
	v_pk_fma_f32 v[76:77], v[30:31], v[66:67], v[72:73] op_sel:[0,0,1] op_sel_hi:[1,1,0] neg_lo:[0,0,1] neg_hi:[0,0,1]
	v_pk_fma_f32 v[30:31], v[30:31], v[66:67], v[72:73] op_sel:[0,0,1] op_sel_hi:[1,0,0]
	v_mov_b32_e32 v23, v37
	v_mov_b32_e32 v75, v35
	v_pk_fma_f32 v[36:37], v[28:29], v[18:19], v[46:47] op_sel:[0,0,1] op_sel_hi:[1,1,0] neg_lo:[0,0,1] neg_hi:[0,0,1]
	v_pk_fma_f32 v[34:35], v[28:29], v[18:19], v[46:47] op_sel:[0,0,1] op_sel_hi:[1,0,0]
	v_mov_b32_e32 v45, v27
	v_mov_b32_e32 v77, v31
	v_mov_b32_e32 v37, v35
	v_mov_b32_e32 v43, v39
	v_pk_add_f32 v[30:31], v[44:45], v[76:77] neg_lo:[0,1] neg_hi:[0,1]
	v_pk_add_f32 v[36:37], v[24:25], v[36:37] neg_lo:[0,1] neg_hi:[0,1]
	;; [unrolled: 1-line block ×3, first 2 shown]
	v_pk_fma_f32 v[38:39], v[44:45], 2.0, v[30:31] op_sel_hi:[1,0,1] neg_lo:[0,0,1] neg_hi:[0,0,1]
	v_pk_fma_f32 v[24:25], v[24:25], 2.0, v[36:37] op_sel_hi:[1,0,1] neg_lo:[0,0,1] neg_hi:[0,0,1]
	v_pk_add_f32 v[42:43], v[36:37], v[30:31] op_sel:[0,1] op_sel_hi:[1,0] neg_lo:[0,1] neg_hi:[0,1]
	v_pk_add_f32 v[30:31], v[36:37], v[30:31] op_sel:[0,1] op_sel_hi:[1,0]
	v_pk_add_f32 v[28:29], v[22:23], v[74:75] neg_lo:[0,1] neg_hi:[0,1]
	v_pk_add_f32 v[38:39], v[24:25], v[38:39] neg_lo:[0,1] neg_hi:[0,1]
	v_mov_b32_e32 v43, v31
	v_sub_f32_e32 v34, v26, v29
	v_add_f32_e32 v70, v27, v28
	v_pk_fma_f32 v[24:25], v[24:25], 2.0, v[38:39] op_sel_hi:[1,0,1] neg_lo:[0,0,1] neg_hi:[0,0,1]
	v_pk_fma_f32 v[30:31], v[36:37], 2.0, v[42:43] op_sel_hi:[1,0,1] neg_lo:[0,0,1] neg_hi:[0,0,1]
	ds_write2_b64 v88, v[24:25], v[30:31] offset1:21
	ds_write2_b64 v88, v[38:39], v[42:43] offset0:42 offset1:63
	s_and_saveexec_b64 s[6:7], s[0:1]
	s_cbranch_execz .LBB0_9
; %bb.8:
	v_mul_u32_u24_sdwa v30, v85, s18 dst_sel:DWORD dst_unused:UNUSED_PAD src0_sel:WORD_0 src1_sel:DWORD
	v_pk_fma_f32 v[20:21], v[20:21], 2.0, v[26:27] op_sel_hi:[1,0,1] neg_lo:[0,0,1] neg_hi:[0,0,1]
	v_pk_fma_f32 v[22:23], v[22:23], 2.0, v[28:29] op_sel_hi:[1,0,1] neg_lo:[0,0,1] neg_hi:[0,0,1]
	v_add_u32_e32 v30, v30, v87
	v_pk_add_f32 v[22:23], v[20:21], v[22:23] neg_lo:[0,1] neg_hi:[0,1]
	v_fma_f32 v25, v27, 2.0, -v70
	v_fma_f32 v24, v26, 2.0, -v34
	v_lshl_add_u32 v30, v30, 3, v82
	v_fma_f32 v21, v21, 2.0, -v23
	v_fma_f32 v20, v20, 2.0, -v22
	v_mov_b32_e32 v35, v70
	ds_write2_b64 v30, v[20:21], v[24:25] offset1:21
	ds_write2_b64 v30, v[22:23], v[34:35] offset0:42 offset1:63
.LBB0_9:
	s_or_b64 exec, exec, s[6:7]
	v_mad_u64_u32 v[36:37], s[6:7], v53, 48, s[14:15]
	s_waitcnt lgkmcnt(0)
	s_barrier
	global_load_dwordx4 v[28:31], v[36:37], off offset:632
	global_load_dwordx4 v[24:27], v[36:37], off offset:616
	;; [unrolled: 1-line block ×3, first 2 shown]
	v_add_u32_e32 v35, 0x800, v71
	ds_read2_b64 v[36:39], v71 offset0:168 offset1:252
	ds_read2_b64 v[42:45], v71 offset1:84
	ds_read_b64 v[46:47], v71 offset:4032
	ds_read2_b64 v[72:75], v35 offset0:80 offset1:164
	v_lshl_add_u64 v[32:33], s[12:13], 0, v[32:33]
	s_mov_b32 s12, 0x3eae86e6
	s_waitcnt lgkmcnt(3)
	v_mov_b32_e32 v76, v37
	v_mov_b32_e32 v79, v38
	s_waitcnt lgkmcnt(0)
	v_mov_b32_e32 v77, v72
	v_mov_b32_e32 v78, v75
	s_mov_b32 s13, 0xbf08b237
	s_mov_b32 s20, 0x3d64c772
	;; [unrolled: 1-line block ×9, first 2 shown]
	s_waitcnt vmcnt(2)
	v_mul_f32_e32 v81, v39, v28
	v_mul_f32_e32 v91, v38, v29
	;; [unrolled: 1-line block ×4, first 2 shown]
	s_waitcnt vmcnt(1)
	v_mul_f32_e32 v41, v37, v27
	s_waitcnt vmcnt(0)
	v_mul_f32_e32 v90, v75, v21
	v_mov_b32_e32 v37, v73
	v_mov_b32_e32 v72, v27
	;; [unrolled: 1-line block ×6, first 2 shown]
	v_pk_mul_f32 v[96:97], v[44:45], v[24:25] op_sel_hi:[1,0]
	v_mov_b32_e32 v98, v26
	v_mov_b32_e32 v99, v30
	;; [unrolled: 1-line block ×4, first 2 shown]
	v_pk_mul_f32 v[102:103], v[46:47], v[22:23] op_sel_hi:[1,0]
	v_mov_b32_e32 v92, v23
	v_fma_f32 v80, v36, v26, -v41
	v_pk_mul_f32 v[36:37], v[36:37], v[72:73]
	v_pk_mul_f32 v[38:39], v[74:75], v[38:39]
	v_pk_fma_f32 v[104:105], v[44:45], v[24:25], v[96:97] op_sel:[0,1,1] op_sel_hi:[1,1,0]
	v_pk_fma_f32 v[44:45], v[44:45], v[24:25], v[96:97] op_sel:[0,1,1] op_sel_hi:[1,1,0] neg_lo:[1,0,0] neg_hi:[1,0,0]
	v_pk_fma_f32 v[72:73], v[46:47], v[92:93], v[102:103] op_sel:[0,0,1] op_sel_hi:[1,0,0]
	v_pk_fma_f32 v[46:47], v[46:47], v[92:93], v[102:103] op_sel:[0,0,1] op_sel_hi:[1,0,0] neg_lo:[1,0,0] neg_hi:[1,0,0]
	v_pk_fma_f32 v[96:97], v[76:77], v[26:27], v[36:37]
	v_pk_fma_f32 v[36:37], v[76:77], v[98:99], v[36:37] neg_lo:[0,0,1] neg_hi:[0,0,1]
	v_pk_fma_f32 v[76:77], v[78:79], v[20:21], v[38:39]
	v_pk_fma_f32 v[38:39], v[78:79], v[100:101], v[38:39] neg_lo:[0,0,1] neg_hi:[0,0,1]
	v_fma_f32 v90, v74, v20, -v90
	v_mov_b32_e32 v105, v45
	v_mov_b32_e32 v73, v47
	;; [unrolled: 1-line block ×6, first 2 shown]
	v_pk_add_f32 v[74:75], v[80:81], v[90:91]
	v_mov_b32_e32 v45, v80
	v_mov_b32_e32 v47, v90
	v_pk_add_f32 v[78:79], v[104:105], v[72:73]
	v_pk_add_f32 v[80:81], v[92:93], v[94:95]
	;; [unrolled: 1-line block ×3, first 2 shown]
	v_mov_b32_e32 v46, v75
	v_mov_b32_e32 v36, v39
	;; [unrolled: 1-line block ×6, first 2 shown]
	v_pk_add_f32 v[72:73], v[104:105], v[72:73] neg_lo:[0,1] neg_hi:[0,1]
	v_pk_add_f32 v[76:77], v[96:97], v[76:77] neg_lo:[0,1] neg_hi:[0,1]
	v_pk_add_f32 v[96:97], v[74:75], v[80:81]
	v_pk_add_f32 v[44:45], v[44:45], v[46:47] neg_lo:[0,1] neg_hi:[0,1]
	v_pk_add_f32 v[36:37], v[36:37], v[38:39]
	v_mov_b32_e32 v95, v73
	v_mov_b32_e32 v99, v78
	;; [unrolled: 1-line block ×7, first 2 shown]
	v_pk_add_f32 v[94:95], v[94:95], v[76:77] neg_lo:[0,1] neg_hi:[0,1]
	v_pk_add_f32 v[98:99], v[98:99], v[74:75] neg_lo:[0,1] neg_hi:[0,1]
	v_mov_b32_e32 v81, v97
	v_mov_b32_e32 v100, v36
	;; [unrolled: 1-line block ×3, first 2 shown]
	v_pk_add_f32 v[36:37], v[96:97], v[36:37]
	v_pk_add_f32 v[46:47], v[92:93], v[44:45] neg_lo:[0,1] neg_hi:[0,1]
	v_pk_add_f32 v[92:93], v[76:77], v[44:45]
	v_pk_mul_f32 v[94:95], v[94:95], s[14:15]
	v_pk_add_f32 v[100:101], v[80:81], v[100:101] neg_lo:[0,1] neg_hi:[0,1]
	v_pk_add_f32 v[42:43], v[42:43], v[36:37]
	s_mov_b32 s14, 0x3f955555
	v_pk_mul_f32 v[96:97], v[98:99], s[20:21]
	v_pk_mul_f32 v[38:39], v[46:47], s[12:13]
	v_pk_add_f32 v[92:93], v[92:93], v[72:73]
	v_pk_mul_f32 v[98:99], v[100:101], s[18:19]
	v_pk_fma_f32 v[36:37], v[36:37], s[14:15], v[42:43] op_sel_hi:[1,0,1] neg_lo:[1,0,0] neg_hi:[1,0,0]
	v_pk_fma_f32 v[100:101], v[100:101], s[18:19], v[96:97]
	v_pk_fma_f32 v[46:47], v[46:47], s[12:13], v[94:95]
	v_pk_add_f32 v[100:101], v[100:101], v[36:37]
	v_pk_fma_f32 v[46:47], v[92:93], s[6:7], v[46:47] op_sel_hi:[1,0,1]
	v_mov_b32_e32 v77, v45
	v_pk_add_f32 v[102:103], v[100:101], v[46:47]
	v_pk_add_f32 v[46:47], v[100:101], v[46:47] neg_lo:[0,1] neg_hi:[0,1]
	v_mov_b32_e32 v100, v102
	v_mov_b32_e32 v101, v47
	;; [unrolled: 1-line block ×4, first 2 shown]
	ds_write2_b64 v71, v[42:43], v[100:101] offset1:84
	v_pk_add_f32 v[42:43], v[76:77], v[72:73] neg_lo:[0,1] neg_hi:[0,1]
	v_pk_add_f32 v[44:45], v[74:75], v[80:81] neg_lo:[0,1] neg_hi:[0,1]
	s_mov_b32 s12, 0x3f3bfb3b
	v_mov_b32_e32 v72, v98
	v_mov_b32_e32 v73, v97
	;; [unrolled: 1-line block ×6, first 2 shown]
	v_pk_fma_f32 v[72:73], v[44:45], s[12:13], v[72:73] op_sel_hi:[1,0,1] neg_lo:[1,0,1] neg_hi:[1,0,1]
	v_pk_fma_f32 v[74:75], v[42:43], s[22:23], v[74:75] op_sel_hi:[1,0,1] neg_lo:[1,0,1] neg_hi:[1,0,1]
	;; [unrolled: 1-line block ×4, first 2 shown]
	v_pk_add_f32 v[72:73], v[72:73], v[36:37]
	v_pk_fma_f32 v[74:75], v[92:93], s[6:7], v[74:75] op_sel_hi:[1,0,1]
	v_pk_add_f32 v[36:37], v[44:45], v[36:37]
	v_pk_fma_f32 v[38:39], v[92:93], s[6:7], v[38:39] op_sel_hi:[1,0,1]
	v_pk_add_f32 v[76:77], v[72:73], v[74:75]
	v_pk_add_f32 v[72:73], v[72:73], v[74:75] neg_lo:[0,1] neg_hi:[0,1]
	v_pk_add_f32 v[42:43], v[36:37], v[38:39] neg_lo:[0,1] neg_hi:[0,1]
	v_pk_add_f32 v[36:37], v[36:37], v[38:39]
	v_mov_b32_e32 v75, v73
	v_mov_b32_e32 v39, v37
	;; [unrolled: 1-line block ×4, first 2 shown]
	s_movk_i32 s6, 0x1000
	ds_write2_b64 v35, v[36:37], v[72:73] offset0:80 offset1:164
	v_add_co_u32_e64 v36, s[6:7], s6, v32
	v_mov_b32_e32 v74, v76
	v_mov_b32_e32 v38, v42
	;; [unrolled: 1-line block ×3, first 2 shown]
	v_addc_co_u32_e64 v37, s[6:7], 0, v33, s[6:7]
	ds_write2_b64 v71, v[74:75], v[38:39] offset0:168 offset1:252
	ds_write_b64 v71, v[46:47] offset:4032
	s_waitcnt lgkmcnt(0)
	s_barrier
	global_load_dwordx2 v[42:43], v[36:37], off offset:608
	s_mov_b64 s[6:7], 0x1260
	v_lshl_add_u64 v[32:33], v[32:33], 0, s[6:7]
	global_load_dwordx2 v[46:47], v[32:33], off offset:672
	global_load_dwordx2 v[76:77], v[32:33], off offset:1344
	global_load_dwordx2 v[78:79], v[32:33], off offset:2016
	global_load_dwordx2 v[80:81], v[32:33], off offset:2688
	global_load_dwordx2 v[90:91], v[32:33], off offset:3360
	global_load_dwordx2 v[92:93], v[32:33], off offset:4032
	ds_read2_b64 v[36:39], v71 offset1:84
	s_mov_b32 s6, 0xbee1c552
	v_mov_b32_e32 v74, v4
	v_mov_b32_e32 v75, v4
	;; [unrolled: 1-line block ×6, first 2 shown]
	s_waitcnt vmcnt(6) lgkmcnt(0)
	v_mul_f32_e32 v32, v37, v43
	v_mul_f32_e32 v33, v36, v43
	v_fma_f32 v32, v36, v42, -v32
	v_fmac_f32_e32 v33, v37, v42
	ds_read2_b64 v[42:45], v71 offset0:168 offset1:252
	s_waitcnt vmcnt(5)
	v_mul_f32_e32 v36, v39, v47
	v_mul_f32_e32 v37, v38, v47
	v_fma_f32 v36, v38, v46, -v36
	v_fmac_f32_e32 v37, v39, v46
	ds_write2_b64 v71, v[32:33], v[36:37] offset1:84
	ds_read2_b64 v[36:39], v35 offset0:80 offset1:164
	s_waitcnt vmcnt(4) lgkmcnt(2)
	v_mul_f32_e32 v33, v42, v77
	v_mul_f32_e32 v32, v43, v77
	v_fmac_f32_e32 v33, v43, v76
	s_waitcnt vmcnt(3)
	v_mul_f32_e32 v41, v45, v79
	v_mul_f32_e32 v43, v44, v79
	v_fma_f32 v32, v42, v76, -v32
	v_fma_f32 v42, v44, v78, -v41
	v_fmac_f32_e32 v43, v45, v78
	ds_write2_b64 v71, v[32:33], v[42:43] offset0:168 offset1:252
	s_waitcnt vmcnt(2) lgkmcnt(1)
	v_mul_f32_e32 v32, v37, v81
	v_mul_f32_e32 v33, v36, v81
	v_fma_f32 v32, v36, v80, -v32
	v_fmac_f32_e32 v33, v37, v80
	ds_read_b64 v[36:37], v71 offset:4032
	s_waitcnt vmcnt(1)
	v_mul_f32_e32 v41, v39, v91
	v_mul_f32_e32 v43, v38, v91
	v_fma_f32 v42, v38, v90, -v41
	v_fmac_f32_e32 v43, v39, v90
	ds_write2_b64 v35, v[32:33], v[42:43] offset0:80 offset1:164
	s_waitcnt vmcnt(0) lgkmcnt(1)
	v_mul_f32_e32 v32, v37, v93
	v_mul_f32_e32 v33, v36, v93
	v_fma_f32 v32, v36, v92, -v32
	v_fmac_f32_e32 v33, v37, v92
	ds_write_b64 v71, v[32:33] offset:4032
	s_waitcnt lgkmcnt(0)
	s_barrier
	ds_read2_b64 v[36:39], v71 offset1:84
	ds_read_b64 v[32:33], v71 offset:4032
	ds_read2_b64 v[42:45], v71 offset0:168 offset1:252
	ds_read2_b64 v[78:81], v35 offset0:80 offset1:164
	s_waitcnt lgkmcnt(0)
	s_barrier
	v_pk_add_f32 v[46:47], v[38:39], v[32:33]
	v_pk_add_f32 v[90:91], v[38:39], v[32:33] neg_lo:[0,1] neg_hi:[0,1]
	v_pk_add_f32 v[92:93], v[42:43], v[80:81]
	v_pk_add_f32 v[94:95], v[42:43], v[80:81] neg_lo:[0,1] neg_hi:[0,1]
	v_mov_b32_e32 v42, v44
	v_mov_b32_e32 v80, v78
	;; [unrolled: 1-line block ×4, first 2 shown]
	v_pk_add_f32 v[42:43], v[42:43], v[80:81]
	v_pk_add_f32 v[32:33], v[38:39], v[32:33]
	v_pk_add_f32 v[38:39], v[78:79], v[44:45] neg_lo:[0,1] neg_hi:[0,1]
	v_mov_b32_e32 v93, v43
	v_mov_b32_e32 v46, v32
	;; [unrolled: 1-line block ×6, first 2 shown]
	v_pk_add_f32 v[44:45], v[92:93], v[46:47]
	v_pk_add_f32 v[78:79], v[78:79], v[80:81] neg_lo:[0,1] neg_hi:[0,1]
	v_pk_add_f32 v[80:81], v[32:33], v[42:43] neg_lo:[0,1] neg_hi:[0,1]
	v_mov_b32_e32 v43, v33
	v_pk_add_f32 v[32:33], v[42:43], v[44:45]
	v_pk_mul_f32 v[44:45], v[78:79], s[20:21]
	s_mov_b32 s20, 0xbeae86e6
	v_mov_b32_e32 v98, v39
	v_mov_b32_e32 v99, v90
	;; [unrolled: 1-line block ×4, first 2 shown]
	s_mov_b32 s21, 0x3f08b237
	v_pk_add_f32 v[96:97], v[38:39], v[94:95]
	v_pk_add_f32 v[98:99], v[98:99], v[100:101] neg_lo:[0,1] neg_hi:[0,1]
	v_mov_b32_e32 v100, v91
	v_mov_b32_e32 v38, v39
	v_mov_b32_e32 v39, v94
	s_mov_b32 s22, s21
	s_mov_b32 s23, s20
	v_pk_add_f32 v[38:39], v[100:101], v[38:39] neg_lo:[0,1] neg_hi:[0,1]
	v_pk_add_f32 v[42:43], v[96:97], v[90:91]
	v_pk_add_f32 v[36:37], v[36:37], v[32:33]
	v_pk_mul_f32 v[98:99], v[98:99], s[22:23]
	v_pk_mul_f32 v[96:97], v[42:43], s[6:7] op_sel_hi:[1,0]
	v_pk_mul_f32 v[100:101], v[38:39], s[20:21]
	v_pk_fma_f32 v[102:103], v[32:33], s[14:15], v[36:37] op_sel_hi:[1,0,1] neg_lo:[1,0,0] neg_hi:[1,0,0]
	v_pk_fma_f32 v[32:33], v[80:81], s[18:19], v[44:45]
	v_pk_fma_f32 v[38:39], v[38:39], s[20:21], v[98:99]
	v_pk_mul_f32 v[78:79], v[80:81], s[18:19]
	v_pk_add_f32 v[80:81], v[32:33], v[102:103]
	v_pk_add_f32 v[38:39], v[96:97], v[38:39] op_sel:[1,0] op_sel_hi:[0,1]
	v_pk_add_f32 v[32:33], v[80:81], v[38:39] neg_lo:[0,1] neg_hi:[0,1]
	v_pk_add_f32 v[80:81], v[80:81], v[38:39]
	v_mov_b32_e32 v39, v33
	v_mov_b32_e32 v38, v80
	ds_write2_b64 v40, v[36:37], v[38:39] offset1:1
	v_pk_add_f32 v[36:37], v[92:93], v[46:47] neg_lo:[0,1] neg_hi:[0,1]
	v_mov_b32_e32 v46, v78
	v_mov_b32_e32 v47, v45
	;; [unrolled: 1-line block ×3, first 2 shown]
	v_pk_add_f32 v[38:39], v[94:95], v[90:91] neg_lo:[0,1] neg_hi:[0,1]
	s_mov_b32 s14, 0xbf5ff5aa
	v_pk_fma_f32 v[46:47], v[36:37], s[12:13], v[46:47] op_sel_hi:[1,0,1] neg_lo:[1,0,1] neg_hi:[1,0,1]
	v_mov_b32_e32 v90, v99
	v_mov_b32_e32 v91, v100
	v_pk_fma_f32 v[36:37], v[36:37], s[12:13], v[44:45] op_sel_hi:[1,0,1] neg_lo:[0,0,1] neg_hi:[0,0,1]
	v_mov_b32_e32 v44, v101
	v_mov_b32_e32 v45, v98
	v_pk_fma_f32 v[90:91], v[38:39], s[14:15], v[90:91] op_sel_hi:[1,0,1] neg_lo:[1,0,1] neg_hi:[1,0,1]
	v_pk_fma_f32 v[38:39], v[38:39], s[14:15], v[44:45] op_sel_hi:[1,0,1] neg_lo:[0,0,1] neg_hi:[0,0,1]
	v_pk_add_f32 v[46:47], v[46:47], v[102:103]
	v_pk_fma_f32 v[90:91], v[42:43], s[6:7], v[90:91] op_sel_hi:[1,0,1]
	v_pk_add_f32 v[36:37], v[36:37], v[102:103]
	v_pk_fma_f32 v[38:39], v[42:43], s[6:7], v[38:39] op_sel_hi:[1,0,1]
	v_pk_add_f32 v[92:93], v[46:47], v[90:91] op_sel:[0,1] op_sel_hi:[1,0]
	v_pk_add_f32 v[46:47], v[46:47], v[90:91] op_sel:[0,1] op_sel_hi:[1,0] neg_lo:[0,1] neg_hi:[0,1]
	v_pk_add_f32 v[42:43], v[36:37], v[38:39] op_sel:[0,1] op_sel_hi:[1,0] neg_lo:[0,1] neg_hi:[0,1]
	v_pk_add_f32 v[36:37], v[36:37], v[38:39] op_sel:[0,1] op_sel_hi:[1,0]
	v_mov_b32_e32 v33, v81
	v_mov_b32_e32 v38, v92
	v_mov_b32_e32 v39, v47
	v_mov_b32_e32 v44, v42
	v_mov_b32_e32 v45, v37
	v_mov_b32_e32 v37, v43
	v_mov_b32_e32 v47, v93
	ds_write_b64 v40, v[32:33] offset:48
	v_add_u32_e32 v33, 0x400, v71
	ds_write2_b64 v40, v[38:39], v[44:45] offset0:2 offset1:3
	ds_write2_b64 v40, v[36:37], v[46:47] offset0:4 offset1:5
	s_waitcnt lgkmcnt(0)
	s_barrier
	ds_read2_b64 v[36:39], v71 offset1:84
	ds_read2_b64 v[44:47], v33 offset0:68 offset1:152
	ds_read2_b64 v[40:43], v35 offset0:136 offset1:220
	v_mov_b32_e32 v76, v8
	v_mov_b32_e32 v77, v8
	;; [unrolled: 1-line block ×6, first 2 shown]
	s_and_saveexec_b64 s[6:7], s[2:3]
	s_cbranch_execz .LBB0_11
; %bb.10:
	ds_read2_b64 v[32:35], v33 offset0:40 offset1:236
	ds_read_b64 v[68:69], v71 offset:4480
	s_waitcnt lgkmcnt(1)
	v_mov_b32_e32 v70, v35
	v_mov_b32_e32 v81, v33
.LBB0_11:
	s_or_b64 exec, exec, s[6:7]
	v_mov_b32_e32 v33, v81
	s_waitcnt lgkmcnt(1)
	v_pk_mul_f32 v[80:81], v[8:9], v[44:45]
	s_waitcnt lgkmcnt(0)
	v_pk_mul_f32 v[90:91], v[10:11], v[40:41]
	v_pk_mul_f32 v[4:5], v[4:5], v[46:47]
	v_pk_mul_f32 v[8:9], v[0:1], v[70:71] op_sel_hi:[1,0]
	v_mov_b32_e32 v10, v69
	v_pk_mul_f32 v[6:7], v[6:7], v[42:43]
	v_pk_mul_f32 v[10:11], v[2:3], v[10:11] op_sel_hi:[1,0]
	v_pk_fma_f32 v[92:93], v[74:75], v[46:47], v[4:5] op_sel:[0,0,1] op_sel_hi:[1,1,0]
	v_pk_fma_f32 v[4:5], v[74:75], v[46:47], v[4:5] op_sel:[0,0,1] op_sel_hi:[1,1,0] neg_lo:[0,0,1] neg_hi:[0,0,1]
	v_pk_fma_f32 v[74:75], v[0:1], v[34:35], v[8:9] op_sel:[0,0,1] op_sel_hi:[1,1,0]
	v_pk_fma_f32 v[0:1], v[0:1], v[34:35], v[8:9] op_sel:[0,0,1] op_sel_hi:[1,0,0] neg_lo:[1,0,0] neg_hi:[1,0,0]
	;; [unrolled: 2-line block ×3, first 2 shown]
	v_mov_b32_e32 v93, v5
	v_pk_fma_f32 v[46:47], v[72:73], v[42:43], v[6:7] op_sel:[0,0,1] op_sel_hi:[1,1,0]
	v_pk_fma_f32 v[4:5], v[72:73], v[42:43], v[6:7] op_sel:[0,0,1] op_sel_hi:[1,1,0] neg_lo:[0,0,1] neg_hi:[0,0,1]
	v_mov_b32_e32 v75, v1
	v_pk_fma_f32 v[0:1], v[2:3], v[68:69], v[10:11] op_sel:[0,0,1] op_sel_hi:[1,1,0]
	v_pk_fma_f32 v[2:3], v[2:3], v[68:69], v[10:11] op_sel:[0,0,1] op_sel_hi:[1,0,0] neg_lo:[1,0,0] neg_hi:[1,0,0]
	;; [unrolled: 3-line block ×3, first 2 shown]
	v_mov_b32_e32 v47, v5
	v_mov_b32_e32 v1, v3
	;; [unrolled: 1-line block ×3, first 2 shown]
	v_pk_add_f32 v[4:5], v[92:93], v[46:47]
	s_mov_b32 s2, 0x3f5db3d7
	v_pk_add_f32 v[2:3], v[74:75], v[0:1]
	v_pk_add_f32 v[40:41], v[36:37], v[34:35]
	;; [unrolled: 1-line block ×3, first 2 shown]
	v_pk_add_f32 v[34:35], v[34:35], v[44:45] neg_lo:[0,1] neg_hi:[0,1]
	v_pk_fma_f32 v[42:43], v[4:5], 0.5, v[38:39] op_sel_hi:[1,0,1] neg_lo:[1,0,0] neg_hi:[1,0,0]
	v_pk_add_f32 v[4:5], v[92:93], v[46:47] neg_lo:[0,1] neg_hi:[0,1]
	v_pk_fma_f32 v[8:9], v[2:3], 0.5, v[32:33] op_sel_hi:[1,0,1] neg_lo:[1,0,0] neg_hi:[1,0,0]
	;; [unrolled: 2-line block ×3, first 2 shown]
	v_pk_mul_f32 v[34:35], v[34:35], s[2:3] op_sel_hi:[1,0]
	v_pk_mul_f32 v[72:73], v[4:5], s[2:3] op_sel_hi:[1,0]
	v_pk_add_f32 v[10:11], v[74:75], v[32:33]
	v_pk_mul_f32 v[32:33], v[2:3], s[2:3] op_sel_hi:[1,0]
	v_pk_add_f32 v[40:41], v[40:41], v[44:45]
	v_pk_add_f32 v[44:45], v[36:37], v[34:35] op_sel:[0,1] op_sel_hi:[1,0] neg_lo:[0,1] neg_hi:[0,1]
	v_pk_add_f32 v[34:35], v[36:37], v[34:35] op_sel:[0,1] op_sel_hi:[1,0]
	v_pk_add_f32 v[6:7], v[72:73], v[42:43] op_sel:[1,0] op_sel_hi:[0,1]
	v_pk_add_f32 v[4:5], v[42:43], v[72:73] op_sel:[0,1] op_sel_hi:[1,0] neg_lo:[0,1] neg_hi:[0,1]
	v_mov_b32_e32 v42, v8
	v_mov_b32_e32 v2, v33
	v_mov_b32_e32 v3, v72
	v_mov_b32_e32 v37, v35
	v_mov_b32_e32 v35, v45
	v_pk_add_f32 v[42:43], v[42:43], v[2:3] neg_lo:[0,1] neg_hi:[0,1]
	s_barrier
	ds_write_b64 v86, v[34:35] offset:112
	v_pk_add_f32 v[34:35], v[38:39], v[92:93]
	v_mov_b32_e32 v5, v7
	v_pk_add_f32 v[2:3], v[32:33], v[8:9] op_sel:[1,0] op_sel_hi:[0,1]
	v_mov_b32_e32 v36, v44
	v_pk_add_f32 v[34:35], v[34:35], v[46:47]
	v_mov_b32_e32 v7, v43
	ds_write2_b64 v86, v[40:41], v[36:37] offset1:7
	ds_write2_b64 v89, v[34:35], v[4:5] offset1:7
	ds_write_b64 v89, v[6:7] offset:112
	s_and_saveexec_b64 s[2:3], vcc
	s_xor_b64 s[2:3], exec, s[2:3]
; %bb.12:
                                        ; implicit-def: $vgpr32_vgpr33
                                        ; implicit-def: $vgpr8_vgpr9
                                        ; implicit-def: $vgpr83
                                        ; implicit-def: $vgpr84
; %bb.13:
	s_or_saveexec_b64 s[2:3], s[2:3]
	v_pk_add_f32 v[0:1], v[10:11], v[0:1]
	s_xor_b64 exec, exec, s[2:3]
	s_cbranch_execz .LBB0_15
; %bb.14:
	v_mov_b32_e32 v10, v33
	v_mov_b32_e32 v11, v32
	v_mul_u32_u24_e32 v7, 21, v83
	v_pk_add_f32 v[8:9], v[8:9], v[10:11] neg_lo:[0,1] neg_hi:[0,1]
	v_add_u32_sdwa v7, v7, v84 dst_sel:DWORD dst_unused:UNUSED_PAD src0_sel:DWORD src1_sel:BYTE_0
	v_lshl_add_u32 v7, v7, 3, v82
	v_mov_b32_e32 v10, v42
	v_mov_b32_e32 v11, v3
	;; [unrolled: 1-line block ×3, first 2 shown]
	ds_write2_b64 v7, v[0:1], v[10:11] offset1:7
	ds_write_b64 v7, v[8:9] offset:112
.LBB0_15:
	s_or_b64 exec, exec, s[2:3]
	v_add_u32_e32 v2, 0x800, v71
	s_waitcnt lgkmcnt(0)
	s_barrier
	ds_read2_b64 v[8:11], v71 offset1:147
	ds_read2_b64 v[32:35], v2 offset0:38 offset1:185
	s_and_saveexec_b64 s[2:3], s[4:5]
	s_xor_b64 s[2:3], exec, s[2:3]
	s_or_saveexec_b64 s[2:3], s[2:3]
	v_mov_b32_e32 v40, v16
	v_mov_b32_e32 v41, v16
	;; [unrolled: 1-line block ×9, first 2 shown]
	s_xor_b64 exec, exec, s[2:3]
	s_cbranch_execz .LBB0_17
; %bb.16:
	v_add_u32_e32 v0, 0xa00, v71
	ds_read2_b64 v[0:3], v0 offset0:58 offset1:205
	ds_read2_b64 v[4:7], v71 offset0:84 offset1:231
	s_waitcnt lgkmcnt(1)
	v_mov_b32_e32 v42, v2
	s_waitcnt lgkmcnt(0)
	v_mov_b32_e32 v43, v7
.LBB0_17:
	s_or_b64 exec, exec, s[2:3]
	s_waitcnt lgkmcnt(1)
	v_pk_mul_f32 v[16:17], v[16:17], v[10:11]
	s_waitcnt lgkmcnt(0)
	v_pk_mul_f32 v[18:19], v[18:19], v[32:33]
	v_pk_fma_f32 v[46:47], v[40:41], v[10:11], v[16:17] op_sel:[0,0,1] op_sel_hi:[1,1,0]
	v_pk_fma_f32 v[10:11], v[40:41], v[10:11], v[16:17] op_sel:[0,0,1] op_sel_hi:[1,1,0] neg_lo:[0,0,1] neg_hi:[0,0,1]
	v_pk_mul_f32 v[44:45], v[66:67], v[34:35]
	v_mov_b32_e32 v47, v11
	v_pk_fma_f32 v[10:11], v[38:39], v[32:33], v[18:19] op_sel:[0,0,1] op_sel_hi:[1,1,0]
	v_pk_fma_f32 v[16:17], v[38:39], v[32:33], v[18:19] op_sel:[0,0,1] op_sel_hi:[1,1,0] neg_lo:[0,0,1] neg_hi:[0,0,1]
	v_pk_fma_f32 v[18:19], v[36:37], v[34:35], v[44:45] op_sel:[0,0,1] op_sel_hi:[1,1,0] neg_lo:[0,0,1] neg_hi:[0,0,1]
	v_mov_b32_e32 v11, v17
	v_pk_fma_f32 v[16:17], v[36:37], v[34:35], v[44:45] op_sel:[0,0,1] op_sel_hi:[1,1,0]
	v_pk_add_f32 v[10:11], v[8:9], v[10:11] neg_lo:[0,1] neg_hi:[0,1]
	v_mov_b32_e32 v17, v19
	v_pk_add_f32 v[16:17], v[46:47], v[16:17] neg_lo:[0,1] neg_hi:[0,1]
	v_pk_fma_f32 v[8:9], v[8:9], 2.0, v[10:11] op_sel_hi:[1,0,1] neg_lo:[0,0,1] neg_hi:[0,0,1]
	v_pk_fma_f32 v[18:19], v[46:47], 2.0, v[16:17] op_sel_hi:[1,0,1] neg_lo:[0,0,1] neg_hi:[0,0,1]
	v_pk_add_f32 v[32:33], v[10:11], v[16:17] op_sel:[0,1] op_sel_hi:[1,0]
	v_pk_add_f32 v[16:17], v[10:11], v[16:17] op_sel:[0,1] op_sel_hi:[1,0] neg_lo:[0,1] neg_hi:[0,1]
	v_pk_add_f32 v[18:19], v[8:9], v[18:19] neg_lo:[0,1] neg_hi:[0,1]
	v_mov_b32_e32 v33, v17
	v_pk_fma_f32 v[8:9], v[8:9], 2.0, v[18:19] op_sel_hi:[1,0,1] neg_lo:[0,0,1] neg_hi:[0,0,1]
	v_pk_fma_f32 v[10:11], v[10:11], 2.0, v[32:33] op_sel_hi:[1,0,1] neg_lo:[0,0,1] neg_hi:[0,0,1]
	s_barrier
	ds_write2_b64 v88, v[8:9], v[10:11] offset1:21
	ds_write2_b64 v88, v[18:19], v[32:33] offset0:42 offset1:63
	s_and_saveexec_b64 s[2:3], s[0:1]
	s_cbranch_execz .LBB0_19
; %bb.18:
	s_movk_i32 s0, 0x54
	v_mul_u32_u24_sdwa v7, v85, s0 dst_sel:DWORD dst_unused:UNUSED_PAD src0_sel:WORD_0 src1_sel:DWORD
	v_pk_mul_f32 v[8:9], v[14:15], v[0:1] op_sel:[0,1]
	v_pk_mul_f32 v[10:11], v[12:13], v[42:43] op_sel:[0,1]
	v_mov_b32_e32 v2, v3
	v_add_u32_e32 v7, v7, v87
	v_pk_mul_f32 v[2:3], v[64:65], v[2:3] op_sel_hi:[1,0]
	v_lshl_add_u32 v18, v7, 3, v82
	v_pk_fma_f32 v[16:17], v[14:15], v[0:1], v[8:9] op_sel:[0,0,1] op_sel_hi:[1,1,0]
	v_pk_fma_f32 v[0:1], v[14:15], v[0:1], v[8:9] op_sel:[0,0,1] op_sel_hi:[1,0,0] neg_lo:[1,0,0] neg_hi:[1,0,0]
	v_pk_fma_f32 v[8:9], v[12:13], v[6:7], v[10:11] op_sel:[0,0,1] op_sel_hi:[1,1,0]
	v_pk_fma_f32 v[6:7], v[12:13], v[6:7], v[10:11] op_sel:[0,0,1] op_sel_hi:[1,0,0] neg_lo:[1,0,0] neg_hi:[1,0,0]
	v_mov_b32_e32 v17, v1
	v_mov_b32_e32 v9, v7
	v_pk_fma_f32 v[6:7], v[64:65], v[42:43], v[2:3] op_sel:[0,0,1] op_sel_hi:[1,1,0]
	v_pk_fma_f32 v[2:3], v[64:65], v[42:43], v[2:3] op_sel:[0,0,1] op_sel_hi:[1,0,0] neg_lo:[1,0,0] neg_hi:[1,0,0]
	v_pk_add_f32 v[0:1], v[4:5], v[16:17] neg_lo:[0,1] neg_hi:[0,1]
	v_mov_b32_e32 v7, v3
	v_pk_add_f32 v[2:3], v[8:9], v[6:7] neg_lo:[0,1] neg_hi:[0,1]
	v_pk_fma_f32 v[4:5], v[4:5], 2.0, v[0:1] op_sel_hi:[1,0,1] neg_lo:[0,0,1] neg_hi:[0,0,1]
	v_pk_fma_f32 v[6:7], v[8:9], 2.0, v[2:3] op_sel_hi:[1,0,1] neg_lo:[0,0,1] neg_hi:[0,0,1]
	v_pk_add_f32 v[8:9], v[0:1], v[2:3] op_sel:[0,1] op_sel_hi:[1,0]
	v_pk_add_f32 v[2:3], v[0:1], v[2:3] op_sel:[0,1] op_sel_hi:[1,0] neg_lo:[0,1] neg_hi:[0,1]
	v_pk_add_f32 v[6:7], v[4:5], v[6:7] neg_lo:[0,1] neg_hi:[0,1]
	v_mov_b32_e32 v9, v3
	v_pk_fma_f32 v[4:5], v[4:5], 2.0, v[6:7] op_sel_hi:[1,0,1] neg_lo:[0,0,1] neg_hi:[0,0,1]
	v_pk_fma_f32 v[0:1], v[0:1], 2.0, v[8:9] op_sel_hi:[1,0,1] neg_lo:[0,0,1] neg_hi:[0,0,1]
	ds_write2_b64 v18, v[4:5], v[0:1] offset1:21
	ds_write2_b64 v18, v[6:7], v[8:9] offset0:42 offset1:63
.LBB0_19:
	s_or_b64 exec, exec, s[2:3]
	s_waitcnt lgkmcnt(0)
	s_barrier
	ds_read2_b64 v[0:3], v71 offset0:168 offset1:252
	ds_read2_b64 v[4:7], v71 offset1:84
	v_add_u32_e32 v38, 0x800, v71
	ds_read2_b64 v[8:11], v38 offset0:80 offset1:164
	ds_read_b64 v[16:17], v71 offset:4032
	v_mov_b32_e32 v32, v29
	s_waitcnt lgkmcnt(3)
	v_pk_mul_f32 v[34:35], v[28:29], v[2:3] op_sel:[0,1] op_sel_hi:[1,0]
	v_pk_mul_f32 v[18:19], v[28:29], v[2:3]
	v_mov_b32_e32 v34, v35
	s_waitcnt lgkmcnt(1)
	v_pk_mul_f32 v[36:37], v[30:31], v[8:9] op_sel:[0,1] op_sel_hi:[1,0]
	v_pk_mul_f32 v[32:33], v[32:33], v[2:3] op_sel:[0,1] op_sel_hi:[1,0]
	v_pk_fma_f32 v[2:3], v[28:29], v[2:3], v[34:35] op_sel:[0,1,0] op_sel_hi:[1,0,1] neg_lo:[0,0,1] neg_hi:[0,0,1]
	v_mov_b32_e32 v34, v31
	v_mov_b32_e32 v36, v37
	v_pk_mul_f32 v[28:29], v[30:31], v[8:9]
	v_pk_mul_f32 v[34:35], v[34:35], v[8:9] op_sel:[0,1] op_sel_hi:[1,0]
	v_pk_fma_f32 v[8:9], v[30:31], v[8:9], v[36:37] op_sel:[0,1,0] op_sel_hi:[1,0,1] neg_lo:[0,0,1] neg_hi:[0,0,1]
	v_pk_mul_f32 v[36:37], v[24:25], v[6:7] op_sel_hi:[1,0]
	v_mov_b32_e32 v30, v7
	v_pk_fma_f32 v[6:7], v[24:25], v[6:7], v[36:37] op_sel:[0,1,1] op_sel_hi:[1,1,0]
	v_pk_fma_f32 v[30:31], v[24:25], v[30:31], v[36:37] op_sel:[0,0,1] op_sel_hi:[1,1,0] neg_lo:[0,0,1] neg_hi:[0,0,1]
	v_mov_b32_e32 v6, v1
	v_pk_mul_f32 v[24:25], v[26:27], v[0:1] op_sel_hi:[1,0]
	v_mov_b32_e32 v31, v7
	v_pk_fma_f32 v[6:7], v[26:27], v[6:7], v[24:25] op_sel:[0,0,1] op_sel_hi:[1,1,0] neg_lo:[0,0,1] neg_hi:[0,0,1]
	v_pk_fma_f32 v[0:1], v[26:27], v[0:1], v[24:25] op_sel:[0,1,1] op_sel_hi:[1,1,0]
	v_pk_mul_f32 v[24:25], v[20:21], v[10:11] op_sel_hi:[1,0]
	v_mov_b32_e32 v0, v11
	v_pk_fma_f32 v[10:11], v[20:21], v[10:11], v[24:25] op_sel:[0,1,1] op_sel_hi:[1,1,0]
	v_mov_b32_e32 v7, v1
	v_pk_fma_f32 v[0:1], v[20:21], v[0:1], v[24:25] op_sel:[0,0,1] op_sel_hi:[1,1,0] neg_lo:[0,0,1] neg_hi:[0,0,1]
	s_waitcnt lgkmcnt(0)
	v_mov_b32_e32 v10, v17
	v_pk_mul_f32 v[20:21], v[22:23], v[16:17] op_sel_hi:[1,0]
	v_mov_b32_e32 v1, v11
	v_pk_fma_f32 v[10:11], v[22:23], v[10:11], v[20:21] op_sel:[0,0,1] op_sel_hi:[1,1,0] neg_lo:[0,0,1] neg_hi:[0,0,1]
	v_pk_fma_f32 v[16:17], v[22:23], v[16:17], v[20:21] op_sel:[0,1,1] op_sel_hi:[1,1,0]
	v_mov_b32_e32 v29, v30
	v_mov_b32_e32 v11, v17
	;; [unrolled: 1-line block ×5, first 2 shown]
	v_pk_add_f32 v[16:17], v[30:31], v[10:11]
	v_pk_add_f32 v[20:21], v[30:31], v[10:11] neg_lo:[0,1] neg_hi:[0,1]
	v_pk_add_f32 v[22:23], v[6:7], v[0:1]
	v_pk_add_f32 v[24:25], v[6:7], v[0:1] neg_lo:[0,1] neg_hi:[0,1]
	v_pk_add_f32 v[10:11], v[28:29], v[34:35]
	v_pk_add_f32 v[0:1], v[18:19], v[32:33]
	v_mov_b32_e32 v9, v10
	v_mov_b32_e32 v3, v0
	v_pk_add_f32 v[6:7], v[8:9], v[2:3] neg_lo:[0,1] neg_hi:[0,1]
	v_mov_b32_e32 v30, v23
	v_mov_b32_e32 v31, v2
	;; [unrolled: 1-line block ×4, first 2 shown]
	v_mad_u64_u32 v[14:15], s[0:1], s10, v52, 0
	v_pk_add_f32 v[2:3], v[30:31], v[2:3]
	v_pk_add_f32 v[8:9], v[0:1], v[10:11]
	v_mov_b32_e32 v18, v6
	v_mov_b32_e32 v19, v21
	;; [unrolled: 1-line block ×4, first 2 shown]
	s_mov_b32 s0, 0x3f08b237
	v_mov_b32_e32 v10, v8
	v_mov_b32_e32 v31, v3
	s_mov_b32 s6, 0x3d64c772
	v_pk_add_f32 v[18:19], v[18:19], v[26:27] neg_lo:[0,1] neg_hi:[0,1]
	s_mov_b32 s1, 0xbeae86e6
	v_mov_b32_e32 v26, v20
	v_mov_b32_e32 v28, v6
	;; [unrolled: 1-line block ×3, first 2 shown]
	v_pk_add_f32 v[30:31], v[10:11], v[30:31] neg_lo:[0,1] neg_hi:[0,1]
	v_mov_b32_e32 v32, v17
	v_mov_b32_e32 v33, v3
	v_mov_b32_e32 v0, v8
	v_pk_add_f32 v[2:3], v[2:3], v[8:9]
	s_mov_b32 s7, 0x3f4a47b2
	v_pk_mul_f32 v[18:19], v[18:19], s[0:1]
	v_pk_add_f32 v[26:27], v[26:27], v[28:29] neg_lo:[0,1] neg_hi:[0,1]
	s_mov_b32 s2, s1
	s_mov_b32 s3, s0
	v_pk_add_f32 v[6:7], v[6:7], v[24:25]
	v_pk_add_f32 v[32:33], v[32:33], v[0:1] neg_lo:[0,1] neg_hi:[0,1]
	v_pk_add_f32 v[4:5], v[4:5], v[2:3]
	s_mov_b32 s4, 0xbf955555
	v_pk_mul_f32 v[8:9], v[30:31], s[6:7]
	s_mov_b32 s12, s7
	s_mov_b32 s13, s6
	v_pk_mul_f32 v[28:29], v[26:27], s[2:3]
	v_pk_add_f32 v[6:7], v[6:7], v[20:21]
	s_mov_b32 s0, 0xbee1c552
	v_pk_mul_f32 v[30:31], v[32:33], s[12:13]
	v_pk_fma_f32 v[2:3], v[2:3], s[4:5], v[4:5] op_sel_hi:[1,0,1]
	v_pk_fma_f32 v[32:33], v[32:33], s[12:13], v[8:9]
	v_pk_fma_f32 v[26:27], v[26:27], s[2:3], v[18:19]
	v_pk_add_f32 v[32:33], v[32:33], v[2:3]
	v_pk_fma_f32 v[26:27], v[6:7], s[0:1], v[26:27] op_sel_hi:[1,0,1]
	v_mov_b32_e32 v0, v23
	v_pk_add_f32 v[34:35], v[32:33], v[26:27]
	v_pk_add_f32 v[26:27], v[32:33], v[26:27] neg_lo:[0,1] neg_hi:[0,1]
	v_mov_b32_e32 v32, v34
	v_mov_b32_e32 v33, v27
	;; [unrolled: 1-line block ×3, first 2 shown]
	ds_write2_b64 v71, v[4:5], v[32:33] offset1:84
	v_pk_add_f32 v[4:5], v[24:25], v[20:21] neg_lo:[0,1] neg_hi:[0,1]
	s_mov_b32 s2, 0xbf5ff5aa
	v_pk_add_f32 v[0:1], v[0:1], v[10:11] neg_lo:[0,1] neg_hi:[0,1]
	s_mov_b32 s4, 0x3f3bfb3b
	v_mov_b32_e32 v10, v30
	v_mov_b32_e32 v11, v9
	;; [unrolled: 1-line block ×6, first 2 shown]
	v_pk_fma_f32 v[10:11], v[0:1], s[4:5], v[10:11] op_sel_hi:[1,0,1] neg_lo:[1,0,1] neg_hi:[1,0,1]
	v_pk_fma_f32 v[16:17], v[4:5], s[2:3], v[16:17] op_sel_hi:[1,0,1] neg_lo:[1,0,1] neg_hi:[1,0,1]
	;; [unrolled: 1-line block ×4, first 2 shown]
	v_pk_add_f32 v[10:11], v[10:11], v[2:3]
	v_pk_fma_f32 v[16:17], v[6:7], s[0:1], v[16:17] op_sel_hi:[1,0,1]
	v_pk_add_f32 v[0:1], v[0:1], v[2:3]
	v_pk_fma_f32 v[2:3], v[6:7], s[0:1], v[4:5] op_sel_hi:[1,0,1]
	v_pk_add_f32 v[20:21], v[10:11], v[16:17]
	v_pk_add_f32 v[10:11], v[10:11], v[16:17] neg_lo:[0,1] neg_hi:[0,1]
	v_pk_add_f32 v[4:5], v[0:1], v[2:3] neg_lo:[0,1] neg_hi:[0,1]
	v_pk_add_f32 v[0:1], v[0:1], v[2:3]
	v_mov_b32_e32 v16, v20
	v_mov_b32_e32 v17, v11
	;; [unrolled: 1-line block ×7, first 2 shown]
	ds_write2_b64 v71, v[16:17], v[2:3] offset0:168 offset1:252
	ds_write2_b64 v38, v[0:1], v[10:11] offset0:80 offset1:164
	ds_write_b64 v71, v[26:27] offset:4032
	s_waitcnt lgkmcnt(0)
	s_barrier
	ds_read2_b64 v[0:3], v71 offset1:84
	v_mov_b32_e32 v4, v15
	v_mad_u64_u32 v[4:5], s[0:1], s11, v52, v[4:5]
	v_mov_b32_e32 v15, v4
	s_waitcnt lgkmcnt(0)
	v_mul_f32_e32 v4, v63, v1
	v_fmac_f32_e32 v4, v62, v0
	v_mul_f32_e32 v0, v63, v0
	s_mov_b32 s0, 0x899406f7
	v_fma_f32 v0, v62, v1, -v0
	v_cvt_f64_f32_e32 v[4:5], v4
	s_mov_b32 s1, 0x3f5bdd2b
	v_cvt_f64_f32_e32 v[0:1], v0
	v_mul_f64 v[4:5], v[4:5], s[0:1]
	v_mul_f64 v[0:1], v[0:1], s[0:1]
	v_cvt_f32_f64_e32 v4, v[4:5]
	v_cvt_f32_f64_e32 v5, v[0:1]
	v_mad_u64_u32 v[0:1], s[2:3], s8, v53, 0
	v_mov_b32_e32 v6, v1
	v_mov_b32_e32 v12, s16
	;; [unrolled: 1-line block ×3, first 2 shown]
	v_mad_u64_u32 v[6:7], s[2:3], s9, v53, v[6:7]
	v_mov_b32_e32 v1, v6
	v_lshl_add_u64 v[6:7], v[14:15], 3, v[12:13]
	v_lshl_add_u64 v[6:7], v[0:1], 3, v[6:7]
	v_mul_f32_e32 v0, v61, v3
	v_fmac_f32_e32 v0, v60, v2
	v_cvt_f64_f32_e32 v[0:1], v0
	v_mul_f64 v[0:1], v[0:1], s[0:1]
	global_store_dwordx2 v[6:7], v[4:5], off
	v_cvt_f32_f64_e32 v4, v[0:1]
	v_mul_f32_e32 v0, v61, v2
	v_fma_f32 v0, v60, v3, -v0
	v_cvt_f64_f32_e32 v[0:1], v0
	v_mul_f64 v[0:1], v[0:1], s[0:1]
	v_cvt_f32_f64_e32 v5, v[0:1]
	ds_read2_b64 v[0:3], v71 offset0:168 offset1:252
	v_mov_b32_e32 v8, 0x2a0
	v_mad_u64_u32 v[6:7], s[2:3], s8, v8, v[6:7]
	s_mul_i32 s4, s9, 0x2a0
	v_add_u32_e32 v7, s4, v7
	global_store_dwordx2 v[6:7], v[4:5], off
	s_waitcnt lgkmcnt(0)
	v_mul_f32_e32 v4, v59, v1
	v_fmac_f32_e32 v4, v58, v0
	v_mul_f32_e32 v0, v59, v0
	v_fma_f32 v0, v58, v1, -v0
	v_cvt_f64_f32_e32 v[4:5], v4
	v_cvt_f64_f32_e32 v[0:1], v0
	v_mul_f64 v[4:5], v[4:5], s[0:1]
	v_mul_f64 v[0:1], v[0:1], s[0:1]
	v_cvt_f32_f64_e32 v4, v[4:5]
	v_cvt_f32_f64_e32 v5, v[0:1]
	v_mul_f32_e32 v0, v57, v3
	v_fmac_f32_e32 v0, v56, v2
	v_mad_u64_u32 v[6:7], s[2:3], s8, v8, v[6:7]
	v_cvt_f64_f32_e32 v[0:1], v0
	v_add_u32_e32 v7, s4, v7
	v_mul_f64 v[0:1], v[0:1], s[0:1]
	global_store_dwordx2 v[6:7], v[4:5], off
	v_cvt_f32_f64_e32 v4, v[0:1]
	v_mul_f32_e32 v0, v57, v2
	v_fma_f32 v0, v56, v3, -v0
	v_cvt_f64_f32_e32 v[0:1], v0
	v_mul_f64 v[0:1], v[0:1], s[0:1]
	v_cvt_f32_f64_e32 v5, v[0:1]
	ds_read2_b64 v[0:3], v38 offset0:80 offset1:164
	v_mad_u64_u32 v[6:7], s[2:3], s8, v8, v[6:7]
	v_add_u32_e32 v7, s4, v7
	global_store_dwordx2 v[6:7], v[4:5], off
	s_waitcnt lgkmcnt(0)
	v_mul_f32_e32 v4, v55, v1
	v_fmac_f32_e32 v4, v54, v0
	v_mul_f32_e32 v0, v55, v0
	v_fma_f32 v0, v54, v1, -v0
	v_cvt_f64_f32_e32 v[4:5], v4
	v_cvt_f64_f32_e32 v[0:1], v0
	v_mul_f64 v[4:5], v[4:5], s[0:1]
	v_mul_f64 v[0:1], v[0:1], s[0:1]
	v_cvt_f32_f64_e32 v4, v[4:5]
	v_cvt_f32_f64_e32 v5, v[0:1]
	v_mad_u64_u32 v[0:1], s[2:3], s8, v8, v[6:7]
	v_add_u32_e32 v1, s4, v1
	global_store_dwordx2 v[0:1], v[4:5], off
	v_mul_f32_e32 v4, v51, v3
	v_fmac_f32_e32 v4, v50, v2
	v_mul_f32_e32 v2, v51, v2
	v_fma_f32 v2, v50, v3, -v2
	v_cvt_f64_f32_e32 v[4:5], v4
	v_cvt_f64_f32_e32 v[2:3], v2
	v_mul_f64 v[4:5], v[4:5], s[0:1]
	v_mul_f64 v[2:3], v[2:3], s[0:1]
	v_cvt_f32_f64_e32 v4, v[4:5]
	v_cvt_f32_f64_e32 v5, v[2:3]
	ds_read_b64 v[2:3], v71 offset:4032
	v_mad_u64_u32 v[0:1], s[2:3], s8, v8, v[0:1]
	v_add_u32_e32 v1, s4, v1
	global_store_dwordx2 v[0:1], v[4:5], off
	s_waitcnt lgkmcnt(0)
	v_mul_f32_e32 v4, v49, v3
	v_fmac_f32_e32 v4, v48, v2
	v_mul_f32_e32 v2, v49, v2
	v_fma_f32 v2, v48, v3, -v2
	v_cvt_f64_f32_e32 v[4:5], v4
	v_cvt_f64_f32_e32 v[2:3], v2
	v_mul_f64 v[4:5], v[4:5], s[0:1]
	v_mul_f64 v[2:3], v[2:3], s[0:1]
	v_mad_u64_u32 v[0:1], s[0:1], s8, v8, v[0:1]
	v_cvt_f32_f64_e32 v4, v[4:5]
	v_cvt_f32_f64_e32 v5, v[2:3]
	v_add_u32_e32 v1, s4, v1
	global_store_dwordx2 v[0:1], v[4:5], off
.LBB0_20:
	s_endpgm
	.section	.rodata,"a",@progbits
	.p2align	6, 0x0
	.amdhsa_kernel bluestein_single_fwd_len588_dim1_sp_op_CI_CI
		.amdhsa_group_segment_fixed_size 14112
		.amdhsa_private_segment_fixed_size 0
		.amdhsa_kernarg_size 104
		.amdhsa_user_sgpr_count 2
		.amdhsa_user_sgpr_dispatch_ptr 0
		.amdhsa_user_sgpr_queue_ptr 0
		.amdhsa_user_sgpr_kernarg_segment_ptr 1
		.amdhsa_user_sgpr_dispatch_id 0
		.amdhsa_user_sgpr_kernarg_preload_length 0
		.amdhsa_user_sgpr_kernarg_preload_offset 0
		.amdhsa_user_sgpr_private_segment_size 0
		.amdhsa_uses_dynamic_stack 0
		.amdhsa_enable_private_segment 0
		.amdhsa_system_sgpr_workgroup_id_x 1
		.amdhsa_system_sgpr_workgroup_id_y 0
		.amdhsa_system_sgpr_workgroup_id_z 0
		.amdhsa_system_sgpr_workgroup_info 0
		.amdhsa_system_vgpr_workitem_id 0
		.amdhsa_next_free_vgpr 106
		.amdhsa_next_free_sgpr 24
		.amdhsa_accum_offset 108
		.amdhsa_reserve_vcc 1
		.amdhsa_float_round_mode_32 0
		.amdhsa_float_round_mode_16_64 0
		.amdhsa_float_denorm_mode_32 3
		.amdhsa_float_denorm_mode_16_64 3
		.amdhsa_dx10_clamp 1
		.amdhsa_ieee_mode 1
		.amdhsa_fp16_overflow 0
		.amdhsa_tg_split 0
		.amdhsa_exception_fp_ieee_invalid_op 0
		.amdhsa_exception_fp_denorm_src 0
		.amdhsa_exception_fp_ieee_div_zero 0
		.amdhsa_exception_fp_ieee_overflow 0
		.amdhsa_exception_fp_ieee_underflow 0
		.amdhsa_exception_fp_ieee_inexact 0
		.amdhsa_exception_int_div_zero 0
	.end_amdhsa_kernel
	.text
.Lfunc_end0:
	.size	bluestein_single_fwd_len588_dim1_sp_op_CI_CI, .Lfunc_end0-bluestein_single_fwd_len588_dim1_sp_op_CI_CI
                                        ; -- End function
	.section	.AMDGPU.csdata,"",@progbits
; Kernel info:
; codeLenInByte = 7528
; NumSgprs: 30
; NumVgprs: 106
; NumAgprs: 0
; TotalNumVgprs: 106
; ScratchSize: 0
; MemoryBound: 0
; FloatMode: 240
; IeeeMode: 1
; LDSByteSize: 14112 bytes/workgroup (compile time only)
; SGPRBlocks: 3
; VGPRBlocks: 13
; NumSGPRsForWavesPerEU: 30
; NumVGPRsForWavesPerEU: 106
; AccumOffset: 108
; Occupancy: 4
; WaveLimiterHint : 1
; COMPUTE_PGM_RSRC2:SCRATCH_EN: 0
; COMPUTE_PGM_RSRC2:USER_SGPR: 2
; COMPUTE_PGM_RSRC2:TRAP_HANDLER: 0
; COMPUTE_PGM_RSRC2:TGID_X_EN: 1
; COMPUTE_PGM_RSRC2:TGID_Y_EN: 0
; COMPUTE_PGM_RSRC2:TGID_Z_EN: 0
; COMPUTE_PGM_RSRC2:TIDIG_COMP_CNT: 0
; COMPUTE_PGM_RSRC3_GFX90A:ACCUM_OFFSET: 26
; COMPUTE_PGM_RSRC3_GFX90A:TG_SPLIT: 0
	.text
	.p2alignl 6, 3212836864
	.fill 256, 4, 3212836864
	.type	__hip_cuid_7527999a1279455f,@object ; @__hip_cuid_7527999a1279455f
	.section	.bss,"aw",@nobits
	.globl	__hip_cuid_7527999a1279455f
__hip_cuid_7527999a1279455f:
	.byte	0                               ; 0x0
	.size	__hip_cuid_7527999a1279455f, 1

	.ident	"AMD clang version 19.0.0git (https://github.com/RadeonOpenCompute/llvm-project roc-6.4.0 25133 c7fe45cf4b819c5991fe208aaa96edf142730f1d)"
	.section	".note.GNU-stack","",@progbits
	.addrsig
	.addrsig_sym __hip_cuid_7527999a1279455f
	.amdgpu_metadata
---
amdhsa.kernels:
  - .agpr_count:     0
    .args:
      - .actual_access:  read_only
        .address_space:  global
        .offset:         0
        .size:           8
        .value_kind:     global_buffer
      - .actual_access:  read_only
        .address_space:  global
        .offset:         8
        .size:           8
        .value_kind:     global_buffer
      - .actual_access:  read_only
        .address_space:  global
        .offset:         16
        .size:           8
        .value_kind:     global_buffer
      - .actual_access:  read_only
        .address_space:  global
        .offset:         24
        .size:           8
        .value_kind:     global_buffer
      - .actual_access:  read_only
        .address_space:  global
        .offset:         32
        .size:           8
        .value_kind:     global_buffer
      - .offset:         40
        .size:           8
        .value_kind:     by_value
      - .address_space:  global
        .offset:         48
        .size:           8
        .value_kind:     global_buffer
      - .address_space:  global
        .offset:         56
        .size:           8
        .value_kind:     global_buffer
      - .address_space:  global
        .offset:         64
        .size:           8
        .value_kind:     global_buffer
      - .address_space:  global
        .offset:         72
        .size:           8
        .value_kind:     global_buffer
      - .offset:         80
        .size:           4
        .value_kind:     by_value
      - .address_space:  global
        .offset:         88
        .size:           8
        .value_kind:     global_buffer
      - .address_space:  global
        .offset:         96
        .size:           8
        .value_kind:     global_buffer
    .group_segment_fixed_size: 14112
    .kernarg_segment_align: 8
    .kernarg_segment_size: 104
    .language:       OpenCL C
    .language_version:
      - 2
      - 0
    .max_flat_workgroup_size: 252
    .name:           bluestein_single_fwd_len588_dim1_sp_op_CI_CI
    .private_segment_fixed_size: 0
    .sgpr_count:     30
    .sgpr_spill_count: 0
    .symbol:         bluestein_single_fwd_len588_dim1_sp_op_CI_CI.kd
    .uniform_work_group_size: 1
    .uses_dynamic_stack: false
    .vgpr_count:     106
    .vgpr_spill_count: 0
    .wavefront_size: 64
amdhsa.target:   amdgcn-amd-amdhsa--gfx950
amdhsa.version:
  - 1
  - 2
...

	.end_amdgpu_metadata
